;; amdgpu-corpus repo=ROCm/rocFFT kind=compiled arch=gfx1030 opt=O3
	.text
	.amdgcn_target "amdgcn-amd-amdhsa--gfx1030"
	.amdhsa_code_object_version 6
	.protected	fft_rtc_back_len224_factors_8_7_4_wgs_504_tpt_56_half_op_CI_CI_sbcc_twdbase8_3step_dirReg_intrinsicReadWrite ; -- Begin function fft_rtc_back_len224_factors_8_7_4_wgs_504_tpt_56_half_op_CI_CI_sbcc_twdbase8_3step_dirReg_intrinsicReadWrite
	.globl	fft_rtc_back_len224_factors_8_7_4_wgs_504_tpt_56_half_op_CI_CI_sbcc_twdbase8_3step_dirReg_intrinsicReadWrite
	.p2align	8
	.type	fft_rtc_back_len224_factors_8_7_4_wgs_504_tpt_56_half_op_CI_CI_sbcc_twdbase8_3step_dirReg_intrinsicReadWrite,@function
fft_rtc_back_len224_factors_8_7_4_wgs_504_tpt_56_half_op_CI_CI_sbcc_twdbase8_3step_dirReg_intrinsicReadWrite: ; @fft_rtc_back_len224_factors_8_7_4_wgs_504_tpt_56_half_op_CI_CI_sbcc_twdbase8_3step_dirReg_intrinsicReadWrite
; %bb.0:
	s_clause 0x1
	s_load_dwordx4 s[0:3], s[4:5], 0x18
	s_load_dwordx2 s[30:31], s[4:5], 0x28
	s_mov_b64 s[24:25], 0
	s_waitcnt lgkmcnt(0)
	s_load_dwordx2 s[28:29], s[0:1], 0x8
	s_waitcnt lgkmcnt(0)
	s_add_u32 s7, s28, -1
	s_addc_u32 s8, s29, -1
	s_add_u32 s9, 0, 0x71c4fc00
	s_addc_u32 s10, 0, 0x7c
	s_mul_hi_u32 s12, s9, -9
	s_add_i32 s10, s10, 0x1c71c6a0
	s_sub_i32 s12, s12, s9
	s_mul_i32 s14, s10, -9
	s_mul_i32 s11, s9, -9
	s_add_i32 s12, s12, s14
	s_mul_hi_u32 s13, s9, s11
	s_mul_i32 s16, s9, s12
	s_mul_hi_u32 s14, s9, s12
	s_mul_hi_u32 s15, s10, s11
	s_mul_i32 s11, s10, s11
	s_add_u32 s13, s13, s16
	s_addc_u32 s14, 0, s14
	s_mul_hi_u32 s17, s10, s12
	s_add_u32 s11, s13, s11
	s_mul_i32 s12, s10, s12
	s_addc_u32 s11, s14, s15
	s_addc_u32 s13, s17, 0
	s_add_u32 s11, s11, s12
	v_add_co_u32 v1, s9, s9, s11
	s_addc_u32 s11, 0, s13
	s_cmp_lg_u32 s9, 0
	s_addc_u32 s9, s10, s11
	v_readfirstlane_b32 s10, v1
	s_mul_i32 s12, s7, s9
	s_mul_hi_u32 s11, s7, s9
	s_mul_hi_u32 s13, s8, s9
	s_mul_i32 s9, s8, s9
	s_mul_hi_u32 s14, s7, s10
	s_mul_hi_u32 s15, s8, s10
	s_mul_i32 s10, s8, s10
	s_add_u32 s12, s14, s12
	s_addc_u32 s11, 0, s11
	s_add_u32 s10, s12, s10
	s_addc_u32 s10, s11, s15
	s_addc_u32 s11, s13, 0
	s_add_u32 s9, s10, s9
	s_addc_u32 s10, 0, s11
	s_mul_i32 s12, s9, 9
	s_add_u32 s11, s9, 1
	v_sub_co_u32 v1, s7, s7, s12
	s_mul_hi_u32 s12, s9, 9
	s_addc_u32 s13, s10, 0
	s_mul_i32 s14, s10, 9
	v_sub_co_u32 v2, s15, v1, 9
	s_add_u32 s16, s9, 2
	s_addc_u32 s17, s10, 0
	s_add_i32 s12, s12, s14
	s_cmp_lg_u32 s7, 0
	v_readfirstlane_b32 s7, v2
	s_subb_u32 s8, s8, s12
	s_cmp_lg_u32 s15, 0
	s_subb_u32 s12, s8, 0
	s_cmp_gt_u32 s7, 8
	s_cselect_b32 s7, -1, 0
	s_cmp_eq_u32 s12, 0
	v_readfirstlane_b32 s12, v1
	s_cselect_b32 s7, s7, -1
	s_cmp_lg_u32 s7, 0
	s_cselect_b32 s11, s16, s11
	s_cselect_b32 s13, s17, s13
	s_cmp_gt_u32 s12, 8
	s_cselect_b32 s7, -1, 0
	s_cmp_eq_u32 s8, 0
	s_cselect_b32 s7, s7, -1
	s_cmp_lg_u32 s7, 0
	s_mov_b32 s7, 0
	s_cselect_b32 s8, s11, s9
	s_cselect_b32 s9, s13, s10
	s_add_u32 s34, s8, 1
	s_addc_u32 s35, s9, 0
	v_cmp_lt_u64_e64 s8, s[6:7], s[34:35]
	s_and_b32 vcc_lo, exec_lo, s8
	s_cbranch_vccnz .LBB0_2
; %bb.1:
	v_cvt_f32_u32_e32 v1, s34
	s_sub_i32 s9, 0, s34
	s_mov_b32 s25, s7
	v_rcp_iflag_f32_e32 v1, v1
	v_mul_f32_e32 v1, 0x4f7ffffe, v1
	v_cvt_u32_f32_e32 v1, v1
	v_readfirstlane_b32 s8, v1
	s_mul_i32 s9, s9, s8
	s_mul_hi_u32 s9, s8, s9
	s_add_i32 s8, s8, s9
	s_mul_hi_u32 s8, s6, s8
	s_mul_i32 s9, s8, s34
	s_add_i32 s10, s8, 1
	s_sub_i32 s9, s6, s9
	s_sub_i32 s11, s9, s34
	s_cmp_ge_u32 s9, s34
	s_cselect_b32 s8, s10, s8
	s_cselect_b32 s9, s11, s9
	s_add_i32 s10, s8, 1
	s_cmp_ge_u32 s9, s34
	s_cselect_b32 s24, s10, s8
.LBB0_2:
	s_load_dwordx4 s[20:23], s[2:3], 0x0
	s_load_dwordx4 s[8:11], s[30:31], 0x0
	s_clause 0x1
	s_load_dwordx4 s[16:19], s[4:5], 0x8
	s_load_dwordx2 s[26:27], s[4:5], 0x0
	s_waitcnt lgkmcnt(0)
	s_mul_i32 s9, s24, s35
	s_mul_hi_u32 s12, s24, s34
	s_mul_i32 s13, s24, s34
	s_add_i32 s12, s12, s9
	s_sub_u32 s33, s6, s13
	s_subb_u32 s9, 0, s12
	s_load_dwordx4 s[12:15], s[4:5], 0x60
	s_mul_hi_u32 s21, s33, 9
	s_mul_i32 s9, s9, 9
	s_mul_i32 s33, s33, 9
	s_add_i32 s21, s21, s9
	s_mul_i32 s4, s22, s21
	s_mul_hi_u32 s5, s22, s33
	v_cmp_lt_u64_e64 s38, s[18:19], 3
	s_mul_i32 s9, s23, s33
	s_mul_i32 s23, s10, s21
	s_mul_hi_u32 s36, s10, s33
	s_mul_i32 s37, s11, s33
	s_add_i32 s4, s5, s4
	s_add_i32 s5, s36, s23
	;; [unrolled: 1-line block ×3, first 2 shown]
	s_mul_i32 s11, s22, s33
	s_add_i32 s46, s5, s37
	s_and_b32 vcc_lo, exec_lo, s38
	s_mul_i32 s9, s10, s33
	s_cbranch_vccnz .LBB0_12
; %bb.3:
	s_add_u32 s4, s30, 16
	s_addc_u32 s5, s31, 0
	s_add_u32 s36, s2, 16
	s_addc_u32 s37, s3, 0
	;; [unrolled: 2-line block ×3, first 2 shown]
	s_mov_b64 s[38:39], 2
	s_mov_b32 s40, 0
.LBB0_4:                                ; =>This Inner Loop Header: Depth=1
	s_load_dwordx2 s[42:43], s[0:1], 0x0
	s_waitcnt lgkmcnt(0)
	s_or_b64 s[44:45], s[24:25], s[42:43]
	s_mov_b32 s41, s45
                                        ; implicit-def: $sgpr44_sgpr45
	s_cmp_lg_u64 s[40:41], 0
	s_mov_b32 s41, -1
	s_cbranch_scc0 .LBB0_6
; %bb.5:                                ;   in Loop: Header=BB0_4 Depth=1
	v_cvt_f32_u32_e32 v1, s42
	v_cvt_f32_u32_e32 v2, s43
	s_sub_u32 s45, 0, s42
	s_subb_u32 s47, 0, s43
	v_fmac_f32_e32 v1, 0x4f800000, v2
	v_rcp_f32_e32 v1, v1
	v_mul_f32_e32 v1, 0x5f7ffffc, v1
	v_mul_f32_e32 v2, 0x2f800000, v1
	v_trunc_f32_e32 v2, v2
	v_fmac_f32_e32 v1, 0xcf800000, v2
	v_cvt_u32_f32_e32 v2, v2
	v_cvt_u32_f32_e32 v1, v1
	v_readfirstlane_b32 s41, v2
	v_readfirstlane_b32 s44, v1
	s_mul_i32 s48, s45, s41
	s_mul_hi_u32 s50, s45, s44
	s_mul_i32 s49, s47, s44
	s_add_i32 s48, s50, s48
	s_mul_i32 s51, s45, s44
	s_add_i32 s48, s48, s49
	s_mul_hi_u32 s50, s44, s51
	s_mul_hi_u32 s52, s41, s51
	s_mul_i32 s49, s41, s51
	s_mul_hi_u32 s51, s44, s48
	s_mul_i32 s44, s44, s48
	s_mul_hi_u32 s53, s41, s48
	s_add_u32 s44, s50, s44
	s_addc_u32 s50, 0, s51
	s_add_u32 s44, s44, s49
	s_mul_i32 s48, s41, s48
	s_addc_u32 s44, s50, s52
	s_addc_u32 s49, s53, 0
	s_add_u32 s44, s44, s48
	s_addc_u32 s48, 0, s49
	v_add_co_u32 v1, s44, v1, s44
	s_cmp_lg_u32 s44, 0
	s_addc_u32 s41, s41, s48
	v_readfirstlane_b32 s44, v1
	s_mul_i32 s48, s45, s41
	s_mul_hi_u32 s49, s45, s44
	s_mul_i32 s47, s47, s44
	s_add_i32 s48, s49, s48
	s_mul_i32 s45, s45, s44
	s_add_i32 s48, s48, s47
	s_mul_hi_u32 s49, s41, s45
	s_mul_i32 s50, s41, s45
	s_mul_hi_u32 s45, s44, s45
	s_mul_hi_u32 s51, s44, s48
	s_mul_i32 s44, s44, s48
	s_mul_hi_u32 s47, s41, s48
	s_add_u32 s44, s45, s44
	s_addc_u32 s45, 0, s51
	s_add_u32 s44, s44, s50
	s_mul_i32 s48, s41, s48
	s_addc_u32 s44, s45, s49
	s_addc_u32 s45, s47, 0
	s_add_u32 s44, s44, s48
	s_addc_u32 s45, 0, s45
	v_add_co_u32 v1, s44, v1, s44
	s_cmp_lg_u32 s44, 0
	s_addc_u32 s41, s41, s45
	v_readfirstlane_b32 s44, v1
	s_mul_i32 s47, s24, s41
	s_mul_hi_u32 s45, s24, s41
	s_mul_hi_u32 s48, s25, s41
	s_mul_i32 s41, s25, s41
	s_mul_hi_u32 s49, s24, s44
	s_mul_hi_u32 s50, s25, s44
	s_mul_i32 s44, s25, s44
	s_add_u32 s47, s49, s47
	s_addc_u32 s45, 0, s45
	s_add_u32 s44, s47, s44
	s_addc_u32 s44, s45, s50
	s_addc_u32 s45, s48, 0
	s_add_u32 s44, s44, s41
	s_addc_u32 s45, 0, s45
	s_mul_hi_u32 s41, s42, s44
	s_mul_i32 s48, s42, s45
	s_mul_i32 s49, s42, s44
	s_add_i32 s41, s41, s48
	v_sub_co_u32 v1, s48, s24, s49
	s_mul_i32 s47, s43, s44
	s_add_i32 s41, s41, s47
	v_sub_co_u32 v2, s49, v1, s42
	s_sub_i32 s47, s25, s41
	s_cmp_lg_u32 s48, 0
	s_subb_u32 s47, s47, s43
	s_cmp_lg_u32 s49, 0
	v_readfirstlane_b32 s49, v2
	s_subb_u32 s47, s47, 0
	s_cmp_ge_u32 s47, s43
	s_cselect_b32 s50, -1, 0
	s_cmp_ge_u32 s49, s42
	s_cselect_b32 s49, -1, 0
	s_cmp_eq_u32 s47, s43
	s_cselect_b32 s47, s49, s50
	s_add_u32 s49, s44, 1
	s_addc_u32 s50, s45, 0
	s_add_u32 s51, s44, 2
	s_addc_u32 s52, s45, 0
	s_cmp_lg_u32 s47, 0
	s_cselect_b32 s47, s51, s49
	s_cselect_b32 s49, s52, s50
	s_cmp_lg_u32 s48, 0
	v_readfirstlane_b32 s48, v1
	s_subb_u32 s41, s25, s41
	s_cmp_ge_u32 s41, s43
	s_cselect_b32 s50, -1, 0
	s_cmp_ge_u32 s48, s42
	s_cselect_b32 s48, -1, 0
	s_cmp_eq_u32 s41, s43
	s_cselect_b32 s41, s48, s50
	s_cmp_lg_u32 s41, 0
	s_mov_b32 s41, 0
	s_cselect_b32 s45, s49, s45
	s_cselect_b32 s44, s47, s44
.LBB0_6:                                ;   in Loop: Header=BB0_4 Depth=1
	s_andn2_b32 vcc_lo, exec_lo, s41
	s_cbranch_vccnz .LBB0_8
; %bb.7:                                ;   in Loop: Header=BB0_4 Depth=1
	v_cvt_f32_u32_e32 v1, s42
	s_sub_i32 s44, 0, s42
	v_rcp_iflag_f32_e32 v1, v1
	v_mul_f32_e32 v1, 0x4f7ffffe, v1
	v_cvt_u32_f32_e32 v1, v1
	v_readfirstlane_b32 s41, v1
	s_mul_i32 s44, s44, s41
	s_mul_hi_u32 s44, s41, s44
	s_add_i32 s41, s41, s44
	s_mul_hi_u32 s41, s24, s41
	s_mul_i32 s44, s41, s42
	s_add_i32 s45, s41, 1
	s_sub_i32 s44, s24, s44
	s_sub_i32 s47, s44, s42
	s_cmp_ge_u32 s44, s42
	s_cselect_b32 s41, s45, s41
	s_cselect_b32 s44, s47, s44
	s_add_i32 s45, s41, 1
	s_cmp_ge_u32 s44, s42
	s_cselect_b32 s44, s45, s41
	s_mov_b32 s45, s40
.LBB0_8:                                ;   in Loop: Header=BB0_4 Depth=1
	s_load_dwordx2 s[48:49], s[36:37], 0x0
	s_load_dwordx2 s[50:51], s[4:5], 0x0
	s_mul_i32 s35, s42, s35
	s_mul_hi_u32 s41, s42, s34
	s_mul_i32 s47, s43, s34
	s_mul_i32 s43, s44, s43
	s_mul_hi_u32 s52, s44, s42
	s_mul_i32 s53, s45, s42
	s_add_i32 s35, s41, s35
	s_add_i32 s41, s52, s43
	s_mul_i32 s54, s44, s42
	s_add_i32 s35, s35, s47
	s_add_i32 s41, s41, s53
	s_sub_u32 s24, s24, s54
	s_subb_u32 s25, s25, s41
	s_mul_i32 s34, s42, s34
	s_waitcnt lgkmcnt(0)
	s_mul_i32 s41, s48, s25
	s_mul_hi_u32 s43, s48, s24
	s_mul_i32 s47, s49, s24
	s_add_i32 s41, s43, s41
	s_mul_i32 s48, s48, s24
	s_mul_i32 s25, s50, s25
	s_mul_hi_u32 s43, s50, s24
	s_add_i32 s41, s41, s47
	s_add_u32 s11, s48, s11
	s_addc_u32 s23, s41, s23
	s_add_i32 s25, s43, s25
	s_mul_i32 s41, s51, s24
	s_mul_i32 s24, s50, s24
	s_add_i32 s25, s25, s41
	s_add_u32 s9, s24, s9
	s_addc_u32 s46, s25, s46
	s_add_u32 s38, s38, 1
	s_addc_u32 s39, s39, 0
	s_add_u32 s4, s4, 8
	v_cmp_ge_u64_e64 s24, s[38:39], s[18:19]
	s_addc_u32 s5, s5, 0
	s_add_u32 s36, s36, 8
	s_addc_u32 s37, s37, 0
	s_add_u32 s0, s0, 8
	s_addc_u32 s1, s1, 0
	s_and_b32 vcc_lo, exec_lo, s24
	s_cbranch_vccnz .LBB0_10
; %bb.9:                                ;   in Loop: Header=BB0_4 Depth=1
	s_mov_b64 s[24:25], s[44:45]
	s_branch .LBB0_4
.LBB0_10:
	v_cmp_lt_u64_e64 s0, s[6:7], s[34:35]
	s_mov_b64 s[24:25], 0
	s_and_b32 vcc_lo, exec_lo, s0
	s_cbranch_vccnz .LBB0_12
; %bb.11:
	v_cvt_f32_u32_e32 v1, s34
	s_sub_i32 s1, 0, s34
	v_rcp_iflag_f32_e32 v1, v1
	v_mul_f32_e32 v1, 0x4f7ffffe, v1
	v_cvt_u32_f32_e32 v1, v1
	v_readfirstlane_b32 s0, v1
	s_mul_i32 s1, s1, s0
	s_mul_hi_u32 s1, s0, s1
	s_add_i32 s0, s0, s1
	s_mul_hi_u32 s0, s6, s0
	s_mul_i32 s1, s0, s34
	s_add_i32 s4, s0, 1
	s_sub_i32 s1, s6, s1
	s_sub_i32 s5, s1, s34
	s_cmp_ge_u32 s1, s34
	s_cselect_b32 s0, s4, s0
	s_cselect_b32 s1, s5, s1
	s_add_i32 s4, s0, 1
	s_cmp_ge_u32 s1, s34
	s_cselect_b32 s24, s4, s0
.LBB0_12:
	v_mul_u32_u24_e32 v1, 0x1c72, v0
	s_lshl_b64 s[18:19], s[18:19], 3
	s_waitcnt lgkmcnt(0)
	s_mov_b32 s4, s12
	s_add_u32 s0, s2, s18
	s_addc_u32 s1, s3, s19
	v_lshrrev_b32_e32 v4, 16, v1
	s_load_dword s2, s[0:1], 0x0
	v_cmp_gt_u32_e64 s1, 0xfc, v0
	s_mov_b32 s5, s13
	v_cmp_lt_u32_e64 s0, 0xfb, v0
	v_mul_lo_u16 v1, v4, 9
	v_mul_lo_u32 v6, s20, v4
	v_cndmask_b32_e64 v5, 0, 1, s1
	v_add_nc_u32_e32 v10, 0x70, v4
	v_add_nc_u32_e32 v11, 0x8c, v4
	v_sub_nc_u16 v1, v0, v1
	v_add_nc_u32_e32 v7, 28, v4
	v_add_nc_u32_e32 v8, 56, v4
	v_mul_lo_u32 v10, s20, v10
	v_mul_lo_u32 v11, s20, v11
	v_and_b32_e32 v3, 0xffff, v1
	v_add_nc_u32_e32 v9, 0x54, v4
	v_add_nc_u32_e32 v12, 0xa8, v4
	v_mul_lo_u32 v8, s20, v8
	s_mov_b32 s7, 0x31014000
	v_add_co_u32 v1, s3, s33, v3
	s_waitcnt lgkmcnt(0)
	s_mul_i32 s2, s2, s24
	v_add_co_ci_u32_e64 v2, null, s21, 0, s3
	s_add_i32 s23, s2, s11
	s_add_u32 s2, s30, s18
	s_addc_u32 s3, s31, s19
	s_add_u32 s12, s33, 9
	v_cmp_gt_u64_e32 vcc_lo, s[28:29], v[1:2]
	s_addc_u32 s13, s21, 0
	v_mul_lo_u32 v13, s22, v3
	v_cmp_le_u64_e64 s11, s[12:13], s[28:29]
	s_mov_b32 s6, -2
	s_lshl_b32 s12, s23, 2
	v_cndmask_b32_e64 v2, 0, 1, vcc_lo
	s_or_b32 s0, s0, s11
	v_add_lshl_u32 v6, v13, v6, 2
	v_cndmask_b32_e64 v2, v2, v5, s0
	v_mul_lo_u32 v5, s20, v7
	v_add_nc_u32_e32 v7, 0xc4, v4
	v_add_lshl_u32 v11, v13, v11, 2
	v_add_lshl_u32 v8, v13, v8, 2
	v_and_b32_e32 v2, 1, v2
	v_mul_lo_u32 v7, s20, v7
	v_add_lshl_u32 v5, v13, v5, 2
	v_cmp_eq_u32_e64 s0, 1, v2
	v_add_lshl_u32 v7, v13, v7, 2
	v_cndmask_b32_e64 v2, -1, v6, s0
	v_mul_lo_u32 v6, s20, v9
	v_add_lshl_u32 v9, v13, v10, 2
	v_mul_lo_u32 v10, s20, v12
	v_cndmask_b32_e64 v11, -1, v11, s0
	v_cndmask_b32_e64 v5, -1, v5, s0
	v_cndmask_b32_e64 v8, -1, v8, s0
	v_cndmask_b32_e64 v9, -1, v9, s0
	s_clause 0x1
	buffer_load_dword v9, v9, s[4:7], s12 offen
	buffer_load_dword v11, v11, s[4:7], s12 offen
	v_add_lshl_u32 v6, v13, v6, 2
	v_add_lshl_u32 v10, v13, v10, 2
	v_cndmask_b32_e64 v7, -1, v7, s0
	v_cndmask_b32_e64 v6, -1, v6, s0
	;; [unrolled: 1-line block ×3, first 2 shown]
	s_clause 0x5
	buffer_load_dword v2, v2, s[4:7], s12 offen
	buffer_load_dword v5, v5, s[4:7], s12 offen
	;; [unrolled: 1-line block ×6, first 2 shown]
	s_waitcnt vmcnt(5)
	v_pk_add_f16 v9, v2, v9 neg_lo:[0,1] neg_hi:[0,1]
	s_waitcnt vmcnt(4)
	v_pk_add_f16 v11, v5, v11 neg_lo:[0,1] neg_hi:[0,1]
	;; [unrolled: 2-line block ×4, first 2 shown]
	v_lshrrev_b32_e32 v12, 16, v9
	v_lshrrev_b32_e32 v13, 16, v11
	v_pk_fma_f16 v2, v2, 2.0, v9 op_sel_hi:[1,0,1] neg_lo:[0,0,1] neg_hi:[0,0,1]
	v_pk_fma_f16 v8, v8, 2.0, v10 op_sel_hi:[1,0,1] neg_lo:[0,0,1] neg_hi:[0,0,1]
	v_add_f16_sdwa v17, v11, v7 dst_sel:DWORD dst_unused:UNUSED_PAD src0_sel:DWORD src1_sel:WORD_1
	v_sub_f16_e32 v18, v12, v10
	v_sub_f16_e32 v15, v13, v7
	v_pk_fma_f16 v5, v5, 2.0, v11 op_sel_hi:[1,0,1] neg_lo:[0,0,1] neg_hi:[0,0,1]
	v_pk_fma_f16 v6, v6, 2.0, v7 op_sel_hi:[1,0,1] neg_lo:[0,0,1] neg_hi:[0,0,1]
	v_fma_f16 v11, v11, 2.0, -v17
	v_fma_f16 v12, v12, 2.0, -v18
	;; [unrolled: 1-line block ×3, first 2 shown]
	v_add_f16_sdwa v10, v9, v10 dst_sel:DWORD dst_unused:UNUSED_PAD src0_sel:DWORD src1_sel:WORD_1
	v_pk_add_f16 v20, v2, v8 neg_lo:[0,1] neg_hi:[0,1]
	v_pk_add_f16 v6, v5, v6 neg_lo:[0,1] neg_hi:[0,1]
	v_add_f16_e32 v8, v12, v12
	v_fmamk_f16 v7, v19, 0xb9a8, v12
	v_fma_f16 v21, v9, 2.0, -v10
	v_fmamk_f16 v14, v17, 0x39a8, v10
	v_alignbit_b32 v9, s0, v6, 16
	v_bfi_b32 v12, 0xffff, v8, v20
	v_fmac_f16_e32 v7, 0xb9a8, v11
	v_pk_fma_f16 v2, v2, 2.0, v20 op_sel_hi:[1,0,1] neg_lo:[0,0,1] neg_hi:[0,0,1]
	v_fmamk_f16 v8, v11, 0xb9a8, v21
	v_fmamk_f16 v16, v15, 0x39a8, v18
	v_fmac_f16_e32 v14, 0x39a8, v15
	v_pack_b32_f16 v13, v7, v6
	v_pk_fma_f16 v6, v5, 2.0, v6 op_sel_hi:[1,0,1] neg_lo:[0,0,1] neg_hi:[0,0,1]
	v_pk_add_f16 v5, v20, v9
	v_fmac_f16_e32 v8, 0x39a8, v19
	v_fmac_f16_e32 v16, 0xb9a8, v17
	v_pk_add_f16 v9, v12, v13 neg_lo:[0,1] neg_hi:[0,1]
	v_pk_add_f16 v13, v2, v6 neg_lo:[0,1] neg_hi:[0,1]
	v_fma_f16 v11, v10, 2.0, -v14
	v_fma_f16 v15, v21, 2.0, -v8
	;; [unrolled: 1-line block ×3, first 2 shown]
	v_bfi_b32 v17, 0xffff, v5, v9
	v_pk_fma_f16 v6, v2, 2.0, v13 op_sel_hi:[1,0,1] neg_lo:[0,0,1] neg_hi:[0,0,1]
	v_lshlrev_b32_e32 v2, 2, v3
	v_pk_fma_f16 v10, v20, 2.0, v17 op_sel_hi:[1,0,1] neg_lo:[0,0,1] neg_hi:[0,0,1]
	s_and_saveexec_b32 s0, s1
	s_cbranch_execz .LBB0_14
; %bb.13:
	v_mul_u32_u24_e32 v18, 0x120, v4
	v_perm_b32 v19, v9, v15, 0x5040100
	v_perm_b32 v20, v12, v11, 0x5040100
	;; [unrolled: 1-line block ×4, first 2 shown]
	v_add3_u32 v18, 0, v18, v2
	ds_write2_b32 v18, v6, v19 offset1:9
	ds_write2_b32 v18, v10, v20 offset0:18 offset1:27
	ds_write2_b32 v18, v13, v21 offset0:36 offset1:45
	;; [unrolled: 1-line block ×3, first 2 shown]
.LBB0_14:
	s_or_b32 exec_lo, exec_lo, s0
	s_load_dwordx2 s[2:3], s[2:3], 0x0
	v_cmp_gt_u32_e64 s0, 0x120, v0
	v_alignbit_b32 v13, v13, v13, 16
	v_perm_b32 v14, v5, v15, 0x5040100
	v_mul_u32_u24_e32 v5, 36, v4
	s_waitcnt lgkmcnt(0)
	s_barrier
	buffer_gl0_inv
	s_and_saveexec_b32 s1, s0
	s_cbranch_execz .LBB0_16
; %bb.15:
	v_add3_u32 v7, 0, v5, v2
	ds_read_b32 v11, v7 offset:3456
	ds_read_b32 v9, v7 offset:4608
	;; [unrolled: 1-line block ×5, first 2 shown]
	ds_read_b32 v6, v7
	ds_read_b32 v10, v7 offset:2304
	s_waitcnt lgkmcnt(6)
	v_lshrrev_b32_e32 v12, 16, v11
	s_waitcnt lgkmcnt(5)
	v_alignbit_b32 v13, v9, v9, 16
	s_waitcnt lgkmcnt(4)
	v_lshrrev_b32_e32 v7, 16, v8
	s_waitcnt lgkmcnt(2)
	v_perm_b32 v14, v15, v16, 0x5040100
	v_perm_b32 v9, v15, v16, 0x7060302
.LBB0_16:
	s_or_b32 exec_lo, exec_lo, s1
	s_waitcnt lgkmcnt(0)
	s_barrier
	buffer_gl0_inv
	s_and_saveexec_b32 s1, s0
	s_cbranch_execz .LBB0_18
; %bb.17:
	v_and_b32_e32 v21, 7, v4
	v_lshrrev_b32_e32 v22, 3, v4
	v_lshrrev_b32_e32 v23, 16, v9
	v_alignbit_b32 v24, s0, v10, 16
	v_mul_u32_u24_e32 v15, 6, v21
	v_mul_u32_u24_e32 v22, 56, v22
	v_lshlrev_b32_e32 v19, 2, v15
	v_or_b32_e32 v21, v22, v21
	v_alignbit_b32 v22, s0, v13, 16
	s_clause 0x1
	global_load_dwordx4 v[15:18], v19, s[26:27]
	global_load_dwordx2 v[19:20], v19, s[26:27] offset:16
	v_mul_u32_u24_e32 v21, 36, v21
	v_add3_u32 v21, 0, v21, v2
	v_add_nc_u32_e32 v25, 0x400, v21
	s_waitcnt vmcnt(1)
	v_alignbit_b32 v28, s0, v18, 16
	s_waitcnt vmcnt(0)
	v_perm_b32 v27, v20, v15, 0x7060302
	v_perm_b32 v26, v20, v15, 0x5040100
	v_mul_f16_e32 v29, v11, v17
	v_pk_mul_f16 v31, v10, v16
	v_mul_f16_sdwa v32, v7, v19 dst_sel:DWORD dst_unused:UNUSED_PAD src0_sel:DWORD src1_sel:WORD_1
	v_mul_f16_sdwa v33, v14, v20 dst_sel:DWORD dst_unused:UNUSED_PAD src0_sel:WORD_1 src1_sel:WORD_1
	v_mul_f16_sdwa v34, v14, v15 dst_sel:DWORD dst_unused:UNUSED_PAD src0_sel:DWORD src1_sel:WORD_1
	v_mul_f16_sdwa v11, v11, v17 dst_sel:DWORD dst_unused:UNUSED_PAD src0_sel:DWORD src1_sel:WORD_1
	v_pk_mul_f16 v35, v13, v18
	v_alignbit_b32 v37, s0, v16, 16
	v_pk_mul_f16 v27, v9, v27
	v_pk_mul_f16 v22, v22, v18
	v_mul_f16_sdwa v30, v12, v17 dst_sel:DWORD dst_unused:UNUSED_PAD src0_sel:DWORD src1_sel:WORD_1
	v_mul_f16_sdwa v36, v8, v19 dst_sel:DWORD dst_unused:UNUSED_PAD src0_sel:DWORD src1_sel:WORD_1
	v_pk_mul_f16 v28, v13, v28
	v_add_f16_sdwa v31, v31, v31 dst_sel:DWORD dst_unused:UNUSED_PAD src0_sel:DWORD src1_sel:WORD_1
	v_fmac_f16_e32 v32, v8, v19
	v_fma_f16 v8, v23, v20, -v33
	v_fma_f16 v9, v9, v15, -v34
	;; [unrolled: 1-line block ×3, first 2 shown]
	v_alignbit_b32 v12, s0, v35, 16
	v_pk_mul_f16 v10, v10, v37
	v_pk_fma_f16 v14, v14, v26, v27
	v_fma_f16 v7, v7, v19, -v36
	v_sub_f16_e32 v15, v31, v32
	v_pk_fma_f16 v12, v13, v18, v12 neg_lo:[0,0,1] neg_hi:[0,0,1]
	v_pk_fma_f16 v10, v24, v16, v10 neg_lo:[0,0,1] neg_hi:[0,0,1]
	v_add_f16_e32 v13, v31, v32
	v_sub_f16_e32 v16, v9, v8
	v_pack_b32_f16 v9, v22, v9
	v_pack_b32_f16 v8, v28, v8
	v_alignbit_b32 v18, s0, v14, 16
	v_pack_b32_f16 v17, v30, v7
	v_sub_f16_e32 v20, v12, v11
	v_sub_f16_e32 v7, v10, v7
	v_pk_add_f16 v8, v9, v8
	v_pack_b32_f16 v9, v29, v10
	v_pack_b32_f16 v10, v13, v11
	v_pk_add_f16 v11, v14, v18
	v_sub_f16_sdwa v19, v14, v14 dst_sel:DWORD dst_unused:UNUSED_PAD src0_sel:DWORD src1_sel:WORD_1
	v_sub_f16_e32 v14, v16, v20
	v_sub_f16_e32 v18, v20, v7
	v_add_f16_e32 v20, v20, v7
	v_sub_f16_e32 v7, v7, v16
	v_pk_add_f16 v9, v9, v17
	v_pack_b32_f16 v12, v11, v12
	v_mul_f16_e32 v17, 0x3846, v18
	v_add_f16_e32 v16, v20, v16
	v_mul_f16_e32 v23, 0xbb00, v7
	v_pk_add_f16 v26, v9, v8
	v_pk_add_f16 v10, v10, v12
	v_sub_f16_e32 v20, v13, v11
	v_sub_f16_e32 v24, v8, v9
	v_sub_f16_sdwa v27, v9, v8 dst_sel:DWORD dst_unused:UNUSED_PAD src0_sel:WORD_1 src1_sel:WORD_1
	v_fmamk_f16 v28, v14, 0xb574, v17
	v_fma_f16 v14, v14, 0x3574, -v23
	v_fma_f16 v7, v7, 0xbb00, -v17
	v_sub_f16_e32 v11, v11, v26
	v_sub_f16_e32 v12, v26, v13
	v_sub_f16_sdwa v8, v8, v10 dst_sel:DWORD dst_unused:UNUSED_PAD src0_sel:WORD_1 src1_sel:WORD_1
	v_sub_f16_sdwa v9, v10, v9 dst_sel:DWORD dst_unused:UNUSED_PAD src0_sel:WORD_1 src1_sel:WORD_1
	v_pk_add_f16 v10, v10, v26
	v_sub_f16_e32 v22, v15, v19
	v_sub_f16_e32 v23, v24, v15
	v_fmac_f16_e32 v28, 0xb70e, v16
	v_fmac_f16_e32 v14, 0xb70e, v16
	;; [unrolled: 1-line block ×3, first 2 shown]
	v_mul_f16_e32 v11, 0x3a52, v11
	v_mul_f16_e32 v16, 0x2b26, v12
	v_pk_add_f16 v6, v6, v10
	v_add_f16_e32 v15, v24, v15
	v_mul_f16_e32 v18, 0xbb00, v22
	v_sub_f16_e32 v17, v19, v24
	v_mul_f16_e32 v13, 0x3846, v23
	v_mul_f16_e32 v8, 0x3a52, v8
	v_lshrrev_b32_e32 v23, 16, v10
	v_fmamk_f16 v12, v12, 0x2b26, v11
	v_fma_f16 v11, v20, 0xb9e0, -v11
	v_fma_f16 v16, v20, 0x39e0, -v16
	v_lshrrev_b32_e32 v20, 16, v6
	v_add_f16_e32 v15, v15, v19
	v_mul_f16_e32 v19, 0x2b26, v9
	v_fma_f16 v18, v17, 0x3574, -v18
	v_fmamk_f16 v17, v17, 0xb574, v13
	v_fmamk_f16 v10, v10, 0xbcab, v6
	;; [unrolled: 1-line block ×3, first 2 shown]
	v_fmac_f16_e32 v20, 0xbcab, v23
	v_fma_f16 v13, v22, 0xbb00, -v13
	v_fma_f16 v8, v27, 0xb9e0, -v8
	;; [unrolled: 1-line block ×3, first 2 shown]
	v_fmac_f16_e32 v17, 0xb70e, v15
	v_add_f16_e32 v12, v12, v10
	v_add_f16_e32 v11, v11, v10
	;; [unrolled: 1-line block ×4, first 2 shown]
	v_fmac_f16_e32 v18, 0xb70e, v15
	v_fmac_f16_e32 v13, 0xb70e, v15
	v_add_f16_e32 v8, v8, v20
	v_add_f16_e32 v19, v19, v20
	v_sub_f16_e32 v15, v12, v28
	v_sub_f16_e32 v16, v11, v14
	v_add_f16_e32 v20, v7, v10
	v_sub_f16_e32 v7, v10, v7
	v_add_f16_e32 v10, v14, v11
	v_add_f16_e32 v11, v28, v12
	;; [unrolled: 1-line block ×3, first 2 shown]
	v_sub_f16_e32 v9, v9, v17
	v_sub_f16_e32 v14, v8, v18
	v_add_f16_e32 v17, v13, v19
	v_sub_f16_e32 v13, v19, v13
	v_add_f16_e32 v8, v18, v8
	v_pack_b32_f16 v9, v11, v9
	v_pack_b32_f16 v10, v10, v14
	;; [unrolled: 1-line block ×6, first 2 shown]
	ds_write2_b32 v21, v6, v9 offset1:72
	ds_write2_b32 v21, v10, v7 offset0:144 offset1:216
	ds_write2_b32 v25, v11, v8 offset0:32 offset1:104
	ds_write_b32 v21, v12 offset:1728
.LBB0_18:
	s_or_b32 exec_lo, exec_lo, s1
	v_mul_lo_u16 v6, v4, 37
	v_mov_b32_e32 v10, 2
	s_waitcnt lgkmcnt(0)
	s_barrier
	buffer_gl0_inv
	v_lshrrev_b16 v6, 11, v6
	v_mov_b32_e32 v20, 0x209
	v_add3_u32 v2, 0, v5, v2
	v_mul_lo_u32 v3, s10, v3
	s_or_b32 vcc_lo, s11, vcc_lo
	v_mul_lo_u16 v6, v6, 56
	v_mul_u32_u24_sdwa v0, v0, v20 dst_sel:DWORD dst_unused:UNUSED_PAD src0_sel:WORD_0 src1_sel:DWORD
	s_mul_i32 s4, s2, s24
	s_mov_b32 s3, 0x31014000
	s_add_i32 s4, s4, s9
	v_sub_nc_u16 v4, v4, v6
	v_lshrrev_b32_e32 v0, 18, v0
	s_mov_b32 s2, -2
	s_mov_b32 s0, s14
	s_mov_b32 s1, s15
	v_and_b32_e32 v4, 0xff, v4
	v_mul_lo_u16 v0, 0xe0, v0
	s_lshl_b32 s4, s4, 2
	v_mul_lo_u32 v9, v1, v4
	v_add_nc_u32_e32 v11, 56, v4
	v_mul_u32_u24_e32 v6, 3, v4
	v_add_nc_u32_e32 v14, 0x70, v4
	v_add_nc_u32_e32 v15, 0xa8, v4
	v_add_nc_u32_sdwa v0, v4, v0 dst_sel:DWORD dst_unused:UNUSED_PAD src0_sel:DWORD src1_sel:WORD_0
	v_mul_lo_u32 v11, v1, v11
	v_lshlrev_b32_e32 v6, 2, v6
	v_lshlrev_b32_sdwa v12, v10, v9 dst_sel:DWORD dst_unused:UNUSED_PAD src0_sel:DWORD src1_sel:BYTE_0
	v_lshlrev_b32_sdwa v13, v10, v9 dst_sel:DWORD dst_unused:UNUSED_PAD src0_sel:DWORD src1_sel:BYTE_1
	v_bfe_u32 v9, v9, 16, 8
	v_mul_lo_u32 v14, v1, v14
	global_load_dwordx3 v[6:8], v6, s[26:27] offset:192
	s_clause 0x1
	global_load_dword v12, v12, s[16:17]
	global_load_dword v13, v13, s[16:17] offset:1024
	v_mul_lo_u32 v1, v1, v15
	v_lshlrev_b32_sdwa v16, v10, v11 dst_sel:DWORD dst_unused:UNUSED_PAD src0_sel:DWORD src1_sel:BYTE_0
	v_lshlrev_b32_sdwa v17, v10, v11 dst_sel:DWORD dst_unused:UNUSED_PAD src0_sel:DWORD src1_sel:BYTE_1
	v_lshl_or_b32 v9, v9, 2, 0x800
	v_bfe_u32 v11, v11, 16, 8
	s_clause 0x2
	global_load_dword v15, v16, s[16:17]
	global_load_dword v16, v17, s[16:17] offset:1024
	global_load_dword v9, v9, s[16:17]
	v_lshlrev_b32_sdwa v17, v10, v14 dst_sel:DWORD dst_unused:UNUSED_PAD src0_sel:DWORD src1_sel:BYTE_0
	v_lshlrev_b32_sdwa v18, v10, v14 dst_sel:DWORD dst_unused:UNUSED_PAD src0_sel:DWORD src1_sel:BYTE_1
	v_lshlrev_b32_sdwa v19, v10, v1 dst_sel:DWORD dst_unused:UNUSED_PAD src0_sel:DWORD src1_sel:BYTE_0
	v_lshlrev_b32_sdwa v10, v10, v1 dst_sel:DWORD dst_unused:UNUSED_PAD src0_sel:DWORD src1_sel:BYTE_1
	v_lshl_or_b32 v11, v11, 2, 0x800
	s_clause 0x3
	global_load_dword v17, v17, s[16:17]
	global_load_dword v18, v18, s[16:17] offset:1024
	global_load_dword v19, v19, s[16:17]
	global_load_dword v10, v10, s[16:17] offset:1024
	v_bfe_u32 v14, v14, 16, 8
	v_bfe_u32 v1, v1, 16, 8
	v_add_nc_u32_e32 v4, 56, v0
	global_load_dword v11, v11, s[16:17]
	v_add_nc_u32_e32 v22, 0x70, v0
	v_lshl_or_b32 v14, v14, 2, 0x800
	v_lshl_or_b32 v1, v1, 2, 0x800
	s_clause 0x1
	global_load_dword v14, v14, s[16:17]
	global_load_dword v1, v1, s[16:17]
	ds_read_b32 v5, v2 offset:2016
	ds_read_b32 v20, v2 offset:4032
	ds_read_b32 v21, v2 offset:6048
	ds_read_b32 v2, v2
	v_mul_lo_u32 v23, s8, v0
	v_add_nc_u32_e32 v0, 0xa8, v0
	v_mul_lo_u32 v4, s8, v4
	v_mul_lo_u32 v22, s8, v22
	;; [unrolled: 1-line block ×3, first 2 shown]
	v_add_lshl_u32 v23, v3, v23, 2
	v_add_lshl_u32 v4, v3, v4, 2
	;; [unrolled: 1-line block ×3, first 2 shown]
	v_cndmask_b32_e32 v23, -1, v23, vcc_lo
	v_add_lshl_u32 v0, v3, v0, 2
	v_cndmask_b32_e32 v3, -1, v4, vcc_lo
	s_waitcnt lgkmcnt(3)
	v_lshrrev_b32_e32 v24, 16, v5
	s_waitcnt lgkmcnt(2)
	v_lshrrev_b32_e32 v25, 16, v20
	;; [unrolled: 2-line block ×3, first 2 shown]
	v_cndmask_b32_e32 v4, -1, v22, vcc_lo
	s_waitcnt lgkmcnt(0)
	v_lshrrev_b32_e32 v27, 16, v2
	v_cndmask_b32_e32 v0, -1, v0, vcc_lo
	s_waitcnt vmcnt(12)
	v_mul_f16_sdwa v22, v6, v24 dst_sel:DWORD dst_unused:UNUSED_PAD src0_sel:WORD_1 src1_sel:DWORD
	v_mul_f16_sdwa v28, v6, v5 dst_sel:DWORD dst_unused:UNUSED_PAD src0_sel:WORD_1 src1_sel:DWORD
	;; [unrolled: 1-line block ×6, first 2 shown]
	s_waitcnt vmcnt(11)
	v_lshrrev_b32_e32 v33, 16, v12
	s_waitcnt vmcnt(10)
	v_mul_f16_sdwa v34, v12, v13 dst_sel:DWORD dst_unused:UNUSED_PAD src0_sel:DWORD src1_sel:WORD_1
	v_fmac_f16_e32 v22, v6, v5
	v_fma_f16 v5, v6, v24, -v28
	v_fmac_f16_e32 v29, v7, v20
	v_fma_f16 v6, v7, v25, -v30
	;; [unrolled: 2-line block ×3, first 2 shown]
	v_mul_f16_sdwa v8, v33, v13 dst_sel:DWORD dst_unused:UNUSED_PAD src0_sel:DWORD src1_sel:WORD_1
	v_fmac_f16_e32 v34, v33, v13
	s_waitcnt vmcnt(9)
	v_lshrrev_b32_e32 v20, 16, v15
	s_waitcnt vmcnt(8)
	v_mul_f16_sdwa v21, v15, v16 dst_sel:DWORD dst_unused:UNUSED_PAD src0_sel:DWORD src1_sel:WORD_1
	v_sub_f16_e32 v6, v27, v6
	v_sub_f16_e32 v7, v5, v7
	v_fma_f16 v8, v12, v13, -v8
	s_waitcnt vmcnt(7)
	v_mul_f16_sdwa v12, v34, v9 dst_sel:DWORD dst_unused:UNUSED_PAD src0_sel:DWORD src1_sel:WORD_1
	v_mul_f16_sdwa v13, v20, v16 dst_sel:DWORD dst_unused:UNUSED_PAD src0_sel:DWORD src1_sel:WORD_1
	v_fmac_f16_e32 v21, v20, v16
	s_waitcnt vmcnt(6)
	v_lshrrev_b32_e32 v20, 16, v17
	s_waitcnt vmcnt(5)
	v_mul_f16_sdwa v26, v17, v18 dst_sel:DWORD dst_unused:UNUSED_PAD src0_sel:DWORD src1_sel:WORD_1
	v_sub_f16_e32 v24, v2, v29
	v_sub_f16_e32 v25, v22, v31
	s_waitcnt vmcnt(4)
	v_lshrrev_b32_e32 v28, 16, v19
	s_waitcnt vmcnt(3)
	v_mul_f16_sdwa v29, v19, v10 dst_sel:DWORD dst_unused:UNUSED_PAD src0_sel:DWORD src1_sel:WORD_1
	v_fma_f16 v27, v27, 2.0, -v6
	v_fma_f16 v5, v5, 2.0, -v7
	v_fma_f16 v12, v9, v8, -v12
	v_mul_f16_sdwa v8, v8, v9 dst_sel:DWORD dst_unused:UNUSED_PAD src0_sel:DWORD src1_sel:WORD_1
	v_fma_f16 v13, v15, v16, -v13
	s_waitcnt vmcnt(2)
	v_mul_f16_sdwa v15, v21, v11 dst_sel:DWORD dst_unused:UNUSED_PAD src0_sel:DWORD src1_sel:WORD_1
	v_mul_f16_sdwa v16, v20, v18 dst_sel:DWORD dst_unused:UNUSED_PAD src0_sel:DWORD src1_sel:WORD_1
	v_fmac_f16_e32 v26, v20, v18
	v_fma_f16 v2, v2, 2.0, -v24
	v_fma_f16 v22, v22, 2.0, -v25
	v_mul_f16_sdwa v20, v28, v10 dst_sel:DWORD dst_unused:UNUSED_PAD src0_sel:DWORD src1_sel:WORD_1
	v_fmac_f16_e32 v29, v28, v10
	v_add_f16_e32 v7, v24, v7
	v_sub_f16_e32 v25, v6, v25
	v_sub_f16_e32 v5, v27, v5
	v_fmac_f16_e32 v8, v9, v34
	v_fma_f16 v9, v11, v13, -v15
	v_mul_f16_sdwa v13, v13, v11 dst_sel:DWORD dst_unused:UNUSED_PAD src0_sel:DWORD src1_sel:WORD_1
	v_fma_f16 v15, v17, v18, -v16
	s_waitcnt vmcnt(1)
	v_mul_f16_sdwa v16, v26, v14 dst_sel:DWORD dst_unused:UNUSED_PAD src0_sel:DWORD src1_sel:WORD_1
	v_sub_f16_e32 v22, v2, v22
	v_fma_f16 v10, v19, v10, -v20
	s_waitcnt vmcnt(0)
	v_mul_f16_sdwa v17, v29, v1 dst_sel:DWORD dst_unused:UNUSED_PAD src0_sel:DWORD src1_sel:WORD_1
	v_fma_f16 v24, v24, 2.0, -v7
	v_fma_f16 v6, v6, 2.0, -v25
	v_fma_f16 v18, v27, 2.0, -v5
	v_fmac_f16_e32 v13, v11, v21
	v_fma_f16 v11, v14, v15, -v16
	v_mul_f16_sdwa v15, v15, v14 dst_sel:DWORD dst_unused:UNUSED_PAD src0_sel:DWORD src1_sel:WORD_1
	v_fma_f16 v2, v2, 2.0, -v22
	v_fma_f16 v16, v1, v10, -v17
	v_mul_f16_sdwa v10, v10, v1 dst_sel:DWORD dst_unused:UNUSED_PAD src0_sel:DWORD src1_sel:WORD_1
	v_mul_f16_e32 v17, v18, v8
	v_mul_f16_e32 v19, v6, v13
	;; [unrolled: 1-line block ×3, first 2 shown]
	v_fmac_f16_e32 v15, v14, v26
	v_mul_f16_e32 v8, v2, v8
	v_fmac_f16_e32 v10, v1, v29
	v_fmac_f16_e32 v17, v2, v12
	v_fma_f16 v2, v6, v9, -v13
	v_mul_f16_e32 v6, v22, v15
	v_fma_f16 v1, v18, v12, -v8
	v_mul_f16_e32 v8, v7, v10
	v_fmac_f16_e32 v19, v24, v9
	v_mul_f16_e32 v9, v5, v15
	v_fma_f16 v5, v5, v11, -v6
	v_mul_f16_e32 v10, v25, v10
	v_fma_f16 v6, v25, v16, -v8
	v_lshlrev_b32_e32 v1, 16, v1
	v_lshlrev_b32_e32 v2, 16, v2
	v_fmac_f16_e32 v9, v22, v11
	v_lshlrev_b32_e32 v5, 16, v5
	v_fmac_f16_e32 v10, v7, v16
	v_lshlrev_b32_e32 v6, 16, v6
	v_or_b32_sdwa v1, v1, v17 dst_sel:DWORD dst_unused:UNUSED_PAD src0_sel:DWORD src1_sel:WORD_0
	v_or_b32_sdwa v2, v2, v19 dst_sel:DWORD dst_unused:UNUSED_PAD src0_sel:DWORD src1_sel:WORD_0
	v_or_b32_sdwa v5, v5, v9 dst_sel:DWORD dst_unused:UNUSED_PAD src0_sel:DWORD src1_sel:WORD_0
	v_or_b32_sdwa v6, v6, v10 dst_sel:DWORD dst_unused:UNUSED_PAD src0_sel:DWORD src1_sel:WORD_0
	buffer_store_dword v1, v23, s[0:3], s4 offen
	buffer_store_dword v2, v3, s[0:3], s4 offen
	;; [unrolled: 1-line block ×4, first 2 shown]
	s_endpgm
	.section	.rodata,"a",@progbits
	.p2align	6, 0x0
	.amdhsa_kernel fft_rtc_back_len224_factors_8_7_4_wgs_504_tpt_56_half_op_CI_CI_sbcc_twdbase8_3step_dirReg_intrinsicReadWrite
		.amdhsa_group_segment_fixed_size 0
		.amdhsa_private_segment_fixed_size 0
		.amdhsa_kernarg_size 112
		.amdhsa_user_sgpr_count 6
		.amdhsa_user_sgpr_private_segment_buffer 1
		.amdhsa_user_sgpr_dispatch_ptr 0
		.amdhsa_user_sgpr_queue_ptr 0
		.amdhsa_user_sgpr_kernarg_segment_ptr 1
		.amdhsa_user_sgpr_dispatch_id 0
		.amdhsa_user_sgpr_flat_scratch_init 0
		.amdhsa_user_sgpr_private_segment_size 0
		.amdhsa_wavefront_size32 1
		.amdhsa_uses_dynamic_stack 0
		.amdhsa_system_sgpr_private_segment_wavefront_offset 0
		.amdhsa_system_sgpr_workgroup_id_x 1
		.amdhsa_system_sgpr_workgroup_id_y 0
		.amdhsa_system_sgpr_workgroup_id_z 0
		.amdhsa_system_sgpr_workgroup_info 0
		.amdhsa_system_vgpr_workitem_id 0
		.amdhsa_next_free_vgpr 38
		.amdhsa_next_free_sgpr 55
		.amdhsa_reserve_vcc 1
		.amdhsa_reserve_flat_scratch 0
		.amdhsa_float_round_mode_32 0
		.amdhsa_float_round_mode_16_64 0
		.amdhsa_float_denorm_mode_32 3
		.amdhsa_float_denorm_mode_16_64 3
		.amdhsa_dx10_clamp 1
		.amdhsa_ieee_mode 1
		.amdhsa_fp16_overflow 0
		.amdhsa_workgroup_processor_mode 1
		.amdhsa_memory_ordered 1
		.amdhsa_forward_progress 0
		.amdhsa_shared_vgpr_count 0
		.amdhsa_exception_fp_ieee_invalid_op 0
		.amdhsa_exception_fp_denorm_src 0
		.amdhsa_exception_fp_ieee_div_zero 0
		.amdhsa_exception_fp_ieee_overflow 0
		.amdhsa_exception_fp_ieee_underflow 0
		.amdhsa_exception_fp_ieee_inexact 0
		.amdhsa_exception_int_div_zero 0
	.end_amdhsa_kernel
	.text
.Lfunc_end0:
	.size	fft_rtc_back_len224_factors_8_7_4_wgs_504_tpt_56_half_op_CI_CI_sbcc_twdbase8_3step_dirReg_intrinsicReadWrite, .Lfunc_end0-fft_rtc_back_len224_factors_8_7_4_wgs_504_tpt_56_half_op_CI_CI_sbcc_twdbase8_3step_dirReg_intrinsicReadWrite
                                        ; -- End function
	.section	.AMDGPU.csdata,"",@progbits
; Kernel info:
; codeLenInByte = 5000
; NumSgprs: 57
; NumVgprs: 38
; ScratchSize: 0
; MemoryBound: 0
; FloatMode: 240
; IeeeMode: 1
; LDSByteSize: 0 bytes/workgroup (compile time only)
; SGPRBlocks: 7
; VGPRBlocks: 4
; NumSGPRsForWavesPerEU: 57
; NumVGPRsForWavesPerEU: 38
; Occupancy: 16
; WaveLimiterHint : 0
; COMPUTE_PGM_RSRC2:SCRATCH_EN: 0
; COMPUTE_PGM_RSRC2:USER_SGPR: 6
; COMPUTE_PGM_RSRC2:TRAP_HANDLER: 0
; COMPUTE_PGM_RSRC2:TGID_X_EN: 1
; COMPUTE_PGM_RSRC2:TGID_Y_EN: 0
; COMPUTE_PGM_RSRC2:TGID_Z_EN: 0
; COMPUTE_PGM_RSRC2:TIDIG_COMP_CNT: 0
	.text
	.p2alignl 6, 3214868480
	.fill 48, 4, 3214868480
	.type	__hip_cuid_adc56638c43ad19b,@object ; @__hip_cuid_adc56638c43ad19b
	.section	.bss,"aw",@nobits
	.globl	__hip_cuid_adc56638c43ad19b
__hip_cuid_adc56638c43ad19b:
	.byte	0                               ; 0x0
	.size	__hip_cuid_adc56638c43ad19b, 1

	.ident	"AMD clang version 19.0.0git (https://github.com/RadeonOpenCompute/llvm-project roc-6.4.0 25133 c7fe45cf4b819c5991fe208aaa96edf142730f1d)"
	.section	".note.GNU-stack","",@progbits
	.addrsig
	.addrsig_sym __hip_cuid_adc56638c43ad19b
	.amdgpu_metadata
---
amdhsa.kernels:
  - .args:
      - .actual_access:  read_only
        .address_space:  global
        .offset:         0
        .size:           8
        .value_kind:     global_buffer
      - .address_space:  global
        .offset:         8
        .size:           8
        .value_kind:     global_buffer
      - .offset:         16
        .size:           8
        .value_kind:     by_value
      - .actual_access:  read_only
        .address_space:  global
        .offset:         24
        .size:           8
        .value_kind:     global_buffer
      - .actual_access:  read_only
        .address_space:  global
        .offset:         32
        .size:           8
        .value_kind:     global_buffer
      - .actual_access:  read_only
        .address_space:  global
        .offset:         40
        .size:           8
        .value_kind:     global_buffer
      - .offset:         48
        .size:           8
        .value_kind:     by_value
      - .actual_access:  read_only
        .address_space:  global
        .offset:         56
        .size:           8
        .value_kind:     global_buffer
      - .actual_access:  read_only
        .address_space:  global
        .offset:         64
        .size:           8
        .value_kind:     global_buffer
      - .offset:         72
        .size:           4
        .value_kind:     by_value
      - .actual_access:  read_only
        .address_space:  global
        .offset:         80
        .size:           8
        .value_kind:     global_buffer
      - .actual_access:  read_only
        .address_space:  global
        .offset:         88
        .size:           8
        .value_kind:     global_buffer
      - .address_space:  global
        .offset:         96
        .size:           8
        .value_kind:     global_buffer
      - .address_space:  global
        .offset:         104
        .size:           8
        .value_kind:     global_buffer
    .group_segment_fixed_size: 0
    .kernarg_segment_align: 8
    .kernarg_segment_size: 112
    .language:       OpenCL C
    .language_version:
      - 2
      - 0
    .max_flat_workgroup_size: 504
    .name:           fft_rtc_back_len224_factors_8_7_4_wgs_504_tpt_56_half_op_CI_CI_sbcc_twdbase8_3step_dirReg_intrinsicReadWrite
    .private_segment_fixed_size: 0
    .sgpr_count:     57
    .sgpr_spill_count: 0
    .symbol:         fft_rtc_back_len224_factors_8_7_4_wgs_504_tpt_56_half_op_CI_CI_sbcc_twdbase8_3step_dirReg_intrinsicReadWrite.kd
    .uniform_work_group_size: 1
    .uses_dynamic_stack: false
    .vgpr_count:     38
    .vgpr_spill_count: 0
    .wavefront_size: 32
    .workgroup_processor_mode: 1
amdhsa.target:   amdgcn-amd-amdhsa--gfx1030
amdhsa.version:
  - 1
  - 2
...

	.end_amdgpu_metadata
